;; amdgpu-corpus repo=ROCm/rocFFT kind=compiled arch=gfx1201 opt=O3
	.text
	.amdgcn_target "amdgcn-amd-amdhsa--gfx1201"
	.amdhsa_code_object_version 6
	.protected	fft_rtc_fwd_len585_factors_13_5_9_wgs_195_tpt_65_half_ip_CI_sbrr_dirReg ; -- Begin function fft_rtc_fwd_len585_factors_13_5_9_wgs_195_tpt_65_half_ip_CI_sbrr_dirReg
	.globl	fft_rtc_fwd_len585_factors_13_5_9_wgs_195_tpt_65_half_ip_CI_sbrr_dirReg
	.p2align	8
	.type	fft_rtc_fwd_len585_factors_13_5_9_wgs_195_tpt_65_half_ip_CI_sbrr_dirReg,@function
fft_rtc_fwd_len585_factors_13_5_9_wgs_195_tpt_65_half_ip_CI_sbrr_dirReg: ; @fft_rtc_fwd_len585_factors_13_5_9_wgs_195_tpt_65_half_ip_CI_sbrr_dirReg
; %bb.0:
	s_clause 0x1
	s_load_b64 s[12:13], s[0:1], 0x18
	s_load_b128 s[4:7], s[0:1], 0x0
	v_mul_u32_u24_e32 v1, 0x3f1, v0
	v_mov_b32_e32 v5, 0
	s_load_b64 s[10:11], s[0:1], 0x50
	s_wait_kmcnt 0x0
	s_load_b64 s[8:9], s[12:13], 0x0
	v_lshrrev_b32_e32 v1, 16, v1
	v_cmp_lt_u64_e64 s2, s[6:7], 2
	s_delay_alu instid0(VALU_DEP_2) | instskip(SKIP_4) | instid1(VALU_DEP_1)
	v_mad_co_u64_u32 v[3:4], null, ttmp9, 3, v[1:2]
	v_mov_b32_e32 v1, 0
	v_mov_b32_e32 v2, 0
	;; [unrolled: 1-line block ×3, first 2 shown]
	s_and_b32 vcc_lo, exec_lo, s2
	v_dual_mov_b32 v10, v4 :: v_dual_mov_b32 v9, v3
	s_cbranch_vccnz .LBB0_8
; %bb.1:
	s_load_b64 s[2:3], s[0:1], 0x10
	v_dual_mov_b32 v1, 0 :: v_dual_mov_b32 v8, v4
	v_dual_mov_b32 v2, 0 :: v_dual_mov_b32 v7, v3
	s_add_nc_u64 s[14:15], s[12:13], 8
	s_mov_b64 s[16:17], 1
	s_wait_kmcnt 0x0
	s_add_nc_u64 s[18:19], s[2:3], 8
	s_mov_b32 s3, 0
.LBB0_2:                                ; =>This Inner Loop Header: Depth=1
	s_load_b64 s[20:21], s[18:19], 0x0
                                        ; implicit-def: $vgpr9_vgpr10
	s_mov_b32 s2, exec_lo
	s_wait_kmcnt 0x0
	v_or_b32_e32 v6, s21, v8
	s_delay_alu instid0(VALU_DEP_1)
	v_cmpx_ne_u64_e32 0, v[5:6]
	s_wait_alu 0xfffe
	s_xor_b32 s22, exec_lo, s2
	s_cbranch_execz .LBB0_4
; %bb.3:                                ;   in Loop: Header=BB0_2 Depth=1
	s_cvt_f32_u32 s2, s20
	s_cvt_f32_u32 s23, s21
	s_sub_nc_u64 s[26:27], 0, s[20:21]
	s_wait_alu 0xfffe
	s_delay_alu instid0(SALU_CYCLE_1) | instskip(SKIP_1) | instid1(SALU_CYCLE_2)
	s_fmamk_f32 s2, s23, 0x4f800000, s2
	s_wait_alu 0xfffe
	v_s_rcp_f32 s2, s2
	s_delay_alu instid0(TRANS32_DEP_1) | instskip(SKIP_1) | instid1(SALU_CYCLE_2)
	s_mul_f32 s2, s2, 0x5f7ffffc
	s_wait_alu 0xfffe
	s_mul_f32 s23, s2, 0x2f800000
	s_wait_alu 0xfffe
	s_delay_alu instid0(SALU_CYCLE_2) | instskip(SKIP_1) | instid1(SALU_CYCLE_2)
	s_trunc_f32 s23, s23
	s_wait_alu 0xfffe
	s_fmamk_f32 s2, s23, 0xcf800000, s2
	s_cvt_u32_f32 s25, s23
	s_wait_alu 0xfffe
	s_delay_alu instid0(SALU_CYCLE_1) | instskip(SKIP_1) | instid1(SALU_CYCLE_2)
	s_cvt_u32_f32 s24, s2
	s_wait_alu 0xfffe
	s_mul_u64 s[28:29], s[26:27], s[24:25]
	s_wait_alu 0xfffe
	s_mul_hi_u32 s31, s24, s29
	s_mul_i32 s30, s24, s29
	s_mul_hi_u32 s2, s24, s28
	s_mul_i32 s33, s25, s28
	s_wait_alu 0xfffe
	s_add_nc_u64 s[30:31], s[2:3], s[30:31]
	s_mul_hi_u32 s23, s25, s28
	s_mul_hi_u32 s34, s25, s29
	s_add_co_u32 s2, s30, s33
	s_wait_alu 0xfffe
	s_add_co_ci_u32 s2, s31, s23
	s_mul_i32 s28, s25, s29
	s_add_co_ci_u32 s29, s34, 0
	s_wait_alu 0xfffe
	s_add_nc_u64 s[28:29], s[2:3], s[28:29]
	s_wait_alu 0xfffe
	v_add_co_u32 v4, s2, s24, s28
	s_delay_alu instid0(VALU_DEP_1) | instskip(SKIP_1) | instid1(VALU_DEP_1)
	s_cmp_lg_u32 s2, 0
	s_add_co_ci_u32 s25, s25, s29
	v_readfirstlane_b32 s24, v4
	s_wait_alu 0xfffe
	s_delay_alu instid0(VALU_DEP_1)
	s_mul_u64 s[26:27], s[26:27], s[24:25]
	s_wait_alu 0xfffe
	s_mul_hi_u32 s29, s24, s27
	s_mul_i32 s28, s24, s27
	s_mul_hi_u32 s2, s24, s26
	s_mul_i32 s30, s25, s26
	s_wait_alu 0xfffe
	s_add_nc_u64 s[28:29], s[2:3], s[28:29]
	s_mul_hi_u32 s23, s25, s26
	s_mul_hi_u32 s24, s25, s27
	s_wait_alu 0xfffe
	s_add_co_u32 s2, s28, s30
	s_add_co_ci_u32 s2, s29, s23
	s_mul_i32 s26, s25, s27
	s_add_co_ci_u32 s27, s24, 0
	s_wait_alu 0xfffe
	s_add_nc_u64 s[26:27], s[2:3], s[26:27]
	s_wait_alu 0xfffe
	v_add_co_u32 v4, s2, v4, s26
	s_delay_alu instid0(VALU_DEP_1) | instskip(SKIP_1) | instid1(VALU_DEP_1)
	s_cmp_lg_u32 s2, 0
	s_add_co_ci_u32 s2, s25, s27
	v_mul_hi_u32 v6, v7, v4
	s_wait_alu 0xfffe
	v_mad_co_u64_u32 v[9:10], null, v7, s2, 0
	v_mad_co_u64_u32 v[11:12], null, v8, v4, 0
	;; [unrolled: 1-line block ×3, first 2 shown]
	s_delay_alu instid0(VALU_DEP_3) | instskip(SKIP_1) | instid1(VALU_DEP_4)
	v_add_co_u32 v4, vcc_lo, v6, v9
	s_wait_alu 0xfffd
	v_add_co_ci_u32_e32 v6, vcc_lo, 0, v10, vcc_lo
	s_delay_alu instid0(VALU_DEP_2) | instskip(SKIP_1) | instid1(VALU_DEP_2)
	v_add_co_u32 v4, vcc_lo, v4, v11
	s_wait_alu 0xfffd
	v_add_co_ci_u32_e32 v4, vcc_lo, v6, v12, vcc_lo
	s_wait_alu 0xfffd
	v_add_co_ci_u32_e32 v6, vcc_lo, 0, v14, vcc_lo
	s_delay_alu instid0(VALU_DEP_2) | instskip(SKIP_1) | instid1(VALU_DEP_2)
	v_add_co_u32 v4, vcc_lo, v4, v13
	s_wait_alu 0xfffd
	v_add_co_ci_u32_e32 v6, vcc_lo, 0, v6, vcc_lo
	s_delay_alu instid0(VALU_DEP_2) | instskip(SKIP_1) | instid1(VALU_DEP_3)
	v_mul_lo_u32 v11, s21, v4
	v_mad_co_u64_u32 v[9:10], null, s20, v4, 0
	v_mul_lo_u32 v12, s20, v6
	s_delay_alu instid0(VALU_DEP_2) | instskip(NEXT) | instid1(VALU_DEP_2)
	v_sub_co_u32 v9, vcc_lo, v7, v9
	v_add3_u32 v10, v10, v12, v11
	s_delay_alu instid0(VALU_DEP_1) | instskip(SKIP_1) | instid1(VALU_DEP_1)
	v_sub_nc_u32_e32 v11, v8, v10
	s_wait_alu 0xfffd
	v_subrev_co_ci_u32_e64 v11, s2, s21, v11, vcc_lo
	v_add_co_u32 v12, s2, v4, 2
	s_wait_alu 0xf1ff
	v_add_co_ci_u32_e64 v13, s2, 0, v6, s2
	v_sub_co_u32 v14, s2, v9, s20
	v_sub_co_ci_u32_e32 v10, vcc_lo, v8, v10, vcc_lo
	s_wait_alu 0xf1ff
	v_subrev_co_ci_u32_e64 v11, s2, 0, v11, s2
	s_delay_alu instid0(VALU_DEP_3) | instskip(NEXT) | instid1(VALU_DEP_3)
	v_cmp_le_u32_e32 vcc_lo, s20, v14
	v_cmp_eq_u32_e64 s2, s21, v10
	s_wait_alu 0xfffd
	v_cndmask_b32_e64 v14, 0, -1, vcc_lo
	v_cmp_le_u32_e32 vcc_lo, s21, v11
	s_wait_alu 0xfffd
	v_cndmask_b32_e64 v15, 0, -1, vcc_lo
	v_cmp_le_u32_e32 vcc_lo, s20, v9
	;; [unrolled: 3-line block ×3, first 2 shown]
	s_wait_alu 0xfffd
	v_cndmask_b32_e64 v16, 0, -1, vcc_lo
	v_cmp_eq_u32_e32 vcc_lo, s21, v11
	s_wait_alu 0xf1ff
	s_delay_alu instid0(VALU_DEP_2)
	v_cndmask_b32_e64 v9, v16, v9, s2
	s_wait_alu 0xfffd
	v_cndmask_b32_e32 v11, v15, v14, vcc_lo
	v_add_co_u32 v14, vcc_lo, v4, 1
	s_wait_alu 0xfffd
	v_add_co_ci_u32_e32 v15, vcc_lo, 0, v6, vcc_lo
	s_delay_alu instid0(VALU_DEP_3) | instskip(SKIP_1) | instid1(VALU_DEP_2)
	v_cmp_ne_u32_e32 vcc_lo, 0, v11
	s_wait_alu 0xfffd
	v_dual_cndmask_b32 v10, v15, v13 :: v_dual_cndmask_b32 v11, v14, v12
	v_cmp_ne_u32_e32 vcc_lo, 0, v9
	s_wait_alu 0xfffd
	s_delay_alu instid0(VALU_DEP_2)
	v_dual_cndmask_b32 v10, v6, v10 :: v_dual_cndmask_b32 v9, v4, v11
.LBB0_4:                                ;   in Loop: Header=BB0_2 Depth=1
	s_wait_alu 0xfffe
	s_and_not1_saveexec_b32 s2, s22
	s_cbranch_execz .LBB0_6
; %bb.5:                                ;   in Loop: Header=BB0_2 Depth=1
	v_cvt_f32_u32_e32 v4, s20
	s_sub_co_i32 s22, 0, s20
	s_delay_alu instid0(VALU_DEP_1) | instskip(NEXT) | instid1(TRANS32_DEP_1)
	v_rcp_iflag_f32_e32 v4, v4
	v_mul_f32_e32 v4, 0x4f7ffffe, v4
	s_delay_alu instid0(VALU_DEP_1) | instskip(SKIP_1) | instid1(VALU_DEP_1)
	v_cvt_u32_f32_e32 v4, v4
	s_wait_alu 0xfffe
	v_mul_lo_u32 v6, s22, v4
	s_delay_alu instid0(VALU_DEP_1) | instskip(NEXT) | instid1(VALU_DEP_1)
	v_mul_hi_u32 v6, v4, v6
	v_add_nc_u32_e32 v4, v4, v6
	s_delay_alu instid0(VALU_DEP_1) | instskip(NEXT) | instid1(VALU_DEP_1)
	v_mul_hi_u32 v4, v7, v4
	v_mul_lo_u32 v6, v4, s20
	s_delay_alu instid0(VALU_DEP_1) | instskip(NEXT) | instid1(VALU_DEP_1)
	v_sub_nc_u32_e32 v6, v7, v6
	v_subrev_nc_u32_e32 v10, s20, v6
	v_cmp_le_u32_e32 vcc_lo, s20, v6
	s_wait_alu 0xfffd
	s_delay_alu instid0(VALU_DEP_2) | instskip(NEXT) | instid1(VALU_DEP_1)
	v_dual_cndmask_b32 v6, v6, v10 :: v_dual_add_nc_u32 v9, 1, v4
	v_cndmask_b32_e32 v4, v4, v9, vcc_lo
	v_mov_b32_e32 v10, v5
	s_delay_alu instid0(VALU_DEP_3) | instskip(NEXT) | instid1(VALU_DEP_3)
	v_cmp_le_u32_e32 vcc_lo, s20, v6
	v_add_nc_u32_e32 v9, 1, v4
	s_wait_alu 0xfffd
	s_delay_alu instid0(VALU_DEP_1)
	v_cndmask_b32_e32 v9, v4, v9, vcc_lo
.LBB0_6:                                ;   in Loop: Header=BB0_2 Depth=1
	s_wait_alu 0xfffe
	s_or_b32 exec_lo, exec_lo, s2
	s_load_b64 s[22:23], s[14:15], 0x0
	v_mul_lo_u32 v4, v10, s20
	v_mul_lo_u32 v6, v9, s21
	v_mad_co_u64_u32 v[11:12], null, v9, s20, 0
	s_add_nc_u64 s[16:17], s[16:17], 1
	s_add_nc_u64 s[14:15], s[14:15], 8
	s_wait_alu 0xfffe
	v_cmp_ge_u64_e64 s2, s[16:17], s[6:7]
	s_add_nc_u64 s[18:19], s[18:19], 8
	s_delay_alu instid0(VALU_DEP_2) | instskip(NEXT) | instid1(VALU_DEP_3)
	v_add3_u32 v4, v12, v6, v4
	v_sub_co_u32 v6, vcc_lo, v7, v11
	s_wait_alu 0xfffd
	s_delay_alu instid0(VALU_DEP_2) | instskip(SKIP_3) | instid1(VALU_DEP_2)
	v_sub_co_ci_u32_e32 v4, vcc_lo, v8, v4, vcc_lo
	s_and_b32 vcc_lo, exec_lo, s2
	s_wait_kmcnt 0x0
	v_mul_lo_u32 v7, s23, v6
	v_mul_lo_u32 v4, s22, v4
	v_mad_co_u64_u32 v[1:2], null, s22, v6, v[1:2]
	s_delay_alu instid0(VALU_DEP_1)
	v_add3_u32 v2, v7, v2, v4
	s_wait_alu 0xfffe
	s_cbranch_vccnz .LBB0_8
; %bb.7:                                ;   in Loop: Header=BB0_2 Depth=1
	v_dual_mov_b32 v7, v9 :: v_dual_mov_b32 v8, v10
	s_branch .LBB0_2
.LBB0_8:
	s_lshl_b64 s[2:3], s[6:7], 3
	v_mul_hi_u32 v4, 0x3f03f04, v0
	s_wait_alu 0xfffe
	s_add_nc_u64 s[2:3], s[12:13], s[2:3]
	v_mov_b32_e32 v11, 0
	s_load_b64 s[2:3], s[2:3], 0x0
	s_load_b64 s[0:1], s[0:1], 0x20
                                        ; implicit-def: $vgpr20
                                        ; implicit-def: $vgpr19
                                        ; implicit-def: $vgpr21
                                        ; implicit-def: $vgpr18
                                        ; implicit-def: $vgpr25
                                        ; implicit-def: $vgpr7
                                        ; implicit-def: $vgpr24
                                        ; implicit-def: $vgpr8
                                        ; implicit-def: $vgpr23
                                        ; implicit-def: $vgpr22
                                        ; implicit-def: $vgpr17
	s_delay_alu instid0(VALU_DEP_2) | instskip(NEXT) | instid1(VALU_DEP_1)
	v_mul_u32_u24_e32 v4, 0x41, v4
	v_sub_nc_u32_e32 v0, v0, v4
	s_wait_kmcnt 0x0
	v_mul_lo_u32 v5, s2, v10
	v_mul_lo_u32 v6, s3, v9
	v_mad_co_u64_u32 v[1:2], null, s2, v9, v[1:2]
	v_cmp_gt_u64_e32 vcc_lo, s[0:1], v[9:10]
	v_mov_b32_e32 v9, 0
                                        ; implicit-def: $vgpr10
	s_delay_alu instid0(VALU_DEP_3)
	v_add3_u32 v2, v6, v2, v5
	s_and_saveexec_b32 s1, vcc_lo
	s_cbranch_execz .LBB0_12
; %bb.9:
	v_mov_b32_e32 v9, 0
	s_mov_b32 s2, exec_lo
                                        ; implicit-def: $vgpr17
                                        ; implicit-def: $vgpr22
                                        ; implicit-def: $vgpr10
                                        ; implicit-def: $vgpr23
                                        ; implicit-def: $vgpr8
                                        ; implicit-def: $vgpr24
                                        ; implicit-def: $vgpr7
                                        ; implicit-def: $vgpr25
                                        ; implicit-def: $vgpr18
                                        ; implicit-def: $vgpr21
                                        ; implicit-def: $vgpr19
                                        ; implicit-def: $vgpr20
	v_cmpx_gt_u32_e32 45, v0
	s_cbranch_execz .LBB0_11
; %bb.10:
	v_add_nc_u32_e32 v15, 45, v0
	v_mad_co_u64_u32 v[4:5], null, s8, v0, 0
	v_lshlrev_b64_e32 v[11:12], 2, v[1:2]
	v_add_nc_u32_e32 v19, 0xb4, v0
	s_delay_alu instid0(VALU_DEP_4)
	v_mad_co_u64_u32 v[6:7], null, s8, v15, 0
	v_add_nc_u32_e32 v22, 0x10e, v0
	v_add_nc_u32_e32 v38, 0x21c, v0
	v_add_co_u32 v40, s0, s10, v11
	s_wait_alu 0xf1ff
	v_add_co_ci_u32_e64 v41, s0, s11, v12, s0
	v_mad_co_u64_u32 v[8:9], null, s9, v0, v[5:6]
	v_add_nc_u32_e32 v18, 0x87, v0
	v_mad_co_u64_u32 v[34:35], null, s8, v38, 0
	v_add_nc_u32_e32 v20, 0xe1, v0
	v_add_nc_u32_e32 v25, 0x195, v0
	v_mov_b32_e32 v5, v8
	v_mad_co_u64_u32 v[13:14], null, s8, v18, 0
	v_add_nc_u32_e32 v17, 0x5a, v0
	s_delay_alu instid0(VALU_DEP_3) | instskip(NEXT) | instid1(VALU_DEP_2)
	v_lshlrev_b64_e32 v[4:5], 2, v[4:5]
	v_mad_co_u64_u32 v[9:10], null, s8, v17, 0
	s_delay_alu instid0(VALU_DEP_2) | instskip(SKIP_1) | instid1(VALU_DEP_3)
	v_add_co_u32 v4, s0, v40, v4
	s_wait_alu 0xf1ff
	v_add_co_ci_u32_e64 v5, s0, v41, v5, s0
	s_delay_alu instid0(VALU_DEP_3) | instskip(NEXT) | instid1(VALU_DEP_1)
	v_mov_b32_e32 v8, v10
	v_mad_co_u64_u32 v[15:16], null, s9, v15, v[7:8]
	v_mad_co_u64_u32 v[10:11], null, s9, v17, v[8:9]
	v_mov_b32_e32 v8, v14
	v_mad_co_u64_u32 v[11:12], null, s8, v19, 0
	s_delay_alu instid0(VALU_DEP_4) | instskip(NEXT) | instid1(VALU_DEP_3)
	v_mov_b32_e32 v7, v15
	v_mad_co_u64_u32 v[14:15], null, s9, v18, v[8:9]
	v_lshlrev_b64_e32 v[8:9], 2, v[9:10]
	v_mad_co_u64_u32 v[15:16], null, s8, v20, 0
	s_delay_alu instid0(VALU_DEP_4) | instskip(SKIP_1) | instid1(VALU_DEP_1)
	v_lshlrev_b64_e32 v[6:7], 2, v[6:7]
	v_mov_b32_e32 v10, v12
	v_mad_co_u64_u32 v[17:18], null, s9, v19, v[10:11]
	s_delay_alu instid0(VALU_DEP_3) | instskip(SKIP_1) | instid1(VALU_DEP_4)
	v_add_co_u32 v6, s0, v40, v6
	s_wait_alu 0xf1ff
	v_add_co_ci_u32_e64 v7, s0, v41, v7, s0
	v_mov_b32_e32 v10, v16
	v_add_co_u32 v18, s0, v40, v8
	s_wait_alu 0xf1ff
	v_add_co_ci_u32_e64 v19, s0, v41, v9, s0
	v_lshlrev_b64_e32 v[8:9], 2, v[13:14]
	v_mov_b32_e32 v12, v17
	v_mad_co_u64_u32 v[16:17], null, s9, v20, v[10:11]
	v_mad_co_u64_u32 v[13:14], null, s8, v22, 0
	v_add_nc_u32_e32 v17, 0x13b, v0
	v_add_co_u32 v20, s0, v40, v8
	s_wait_alu 0xf1ff
	v_add_co_ci_u32_e64 v21, s0, v41, v9, s0
	v_lshlrev_b64_e32 v[8:9], 2, v[11:12]
	v_mad_co_u64_u32 v[11:12], null, s8, v17, 0
	v_mov_b32_e32 v10, v14
	s_delay_alu instid0(VALU_DEP_3) | instskip(SKIP_1) | instid1(VALU_DEP_4)
	v_add_co_u32 v26, s0, v40, v8
	s_wait_alu 0xf1ff
	v_add_co_ci_u32_e64 v27, s0, v41, v9, s0
	s_delay_alu instid0(VALU_DEP_3) | instskip(SKIP_2) | instid1(VALU_DEP_1)
	v_mad_co_u64_u32 v[22:23], null, s9, v22, v[10:11]
	v_lshlrev_b64_e32 v[9:10], 2, v[15:16]
	v_dual_mov_b32 v8, v12 :: v_dual_add_nc_u32 v23, 0x168, v0
	v_mad_co_u64_u32 v[15:16], null, s9, v17, v[8:9]
	s_delay_alu instid0(VALU_DEP_2)
	v_mad_co_u64_u32 v[16:17], null, s8, v23, 0
	v_add_co_u32 v28, s0, v40, v9
	s_wait_alu 0xf1ff
	v_add_co_ci_u32_e64 v29, s0, v41, v10, s0
	v_mov_b32_e32 v14, v22
	v_mov_b32_e32 v12, v15
	v_dual_mov_b32 v10, v17 :: v_dual_add_nc_u32 v15, 0x1c2, v0
	s_delay_alu instid0(VALU_DEP_1) | instskip(NEXT) | instid1(VALU_DEP_2)
	v_mad_co_u64_u32 v[22:23], null, s9, v23, v[10:11]
	v_mad_co_u64_u32 v[23:24], null, s8, v15, 0
	s_delay_alu instid0(VALU_DEP_2) | instskip(SKIP_3) | instid1(VALU_DEP_3)
	v_mov_b32_e32 v17, v22
	v_lshlrev_b64_e32 v[8:9], 2, v[13:14]
	v_mad_co_u64_u32 v[13:14], null, s8, v25, 0
	v_add_nc_u32_e32 v22, 0x1ef, v0
	v_add_co_u32 v30, s0, v40, v8
	s_wait_alu 0xf1ff
	s_delay_alu instid0(VALU_DEP_4) | instskip(SKIP_3) | instid1(VALU_DEP_2)
	v_add_co_ci_u32_e64 v31, s0, v41, v9, s0
	v_lshlrev_b64_e32 v[9:10], 2, v[11:12]
	v_mov_b32_e32 v8, v14
	v_mad_co_u64_u32 v[32:33], null, s8, v22, 0
	v_mad_co_u64_u32 v[11:12], null, s9, v25, v[8:9]
	v_mov_b32_e32 v8, v24
	v_add_co_u32 v36, s0, v40, v9
	s_wait_alu 0xf1ff
	v_add_co_ci_u32_e64 v37, s0, v41, v10, s0
	s_delay_alu instid0(VALU_DEP_3) | instskip(SKIP_3) | instid1(VALU_DEP_3)
	v_mad_co_u64_u32 v[24:25], null, s9, v15, v[8:9]
	v_lshlrev_b64_e32 v[9:10], 2, v[16:17]
	v_mov_b32_e32 v8, v33
	v_mov_b32_e32 v14, v11
	v_add_co_u32 v15, s0, v40, v9
	s_delay_alu instid0(VALU_DEP_3) | instskip(SKIP_3) | instid1(VALU_DEP_3)
	v_mad_co_u64_u32 v[11:12], null, s9, v22, v[8:9]
	s_wait_alu 0xf1ff
	v_add_co_ci_u32_e64 v16, s0, v41, v10, s0
	v_lshlrev_b64_e32 v[9:10], 2, v[13:14]
	v_dual_mov_b32 v8, v35 :: v_dual_mov_b32 v33, v11
	s_delay_alu instid0(VALU_DEP_1) | instskip(SKIP_2) | instid1(VALU_DEP_4)
	v_mad_co_u64_u32 v[12:13], null, s9, v38, v[8:9]
	v_lshlrev_b64_e32 v[13:14], 2, v[23:24]
	v_add_co_u32 v38, s0, v40, v9
	v_lshlrev_b64_e32 v[8:9], 2, v[32:33]
	s_wait_alu 0xf1ff
	v_add_co_ci_u32_e64 v39, s0, v41, v10, s0
	v_mov_b32_e32 v35, v12
	v_add_co_u32 v10, s0, v40, v13
	s_wait_alu 0xf1ff
	v_add_co_ci_u32_e64 v11, s0, v41, v14, s0
	s_delay_alu instid0(VALU_DEP_3) | instskip(SKIP_3) | instid1(VALU_DEP_3)
	v_lshlrev_b64_e32 v[12:13], 2, v[34:35]
	v_add_co_u32 v32, s0, v40, v8
	s_wait_alu 0xf1ff
	v_add_co_ci_u32_e64 v33, s0, v41, v9, s0
	v_add_co_u32 v12, s0, v40, v12
	s_wait_alu 0xf1ff
	v_add_co_ci_u32_e64 v13, s0, v41, v13, s0
	s_clause 0xc
	global_load_b32 v9, v[4:5], off
	global_load_b32 v25, v[6:7], off
	;; [unrolled: 1-line block ×13, first 2 shown]
.LBB0_11:
	s_wait_alu 0xfffe
	s_or_b32 exec_lo, exec_lo, s2
	v_mov_b32_e32 v11, v0
.LBB0_12:
	s_wait_alu 0xfffe
	s_or_b32 exec_lo, exec_lo, s1
	v_mul_hi_u32 v4, 0xaaaaaaab, v3
	s_wait_loadcnt 0x0
	v_pk_add_f16 v35, v25, v7 neg_lo:[0,1] neg_hi:[0,1]
	v_pk_add_f16 v29, v25, v7
	v_pk_add_f16 v34, v24, v8 neg_lo:[0,1] neg_hi:[0,1]
	v_pk_add_f16 v28, v24, v8
	v_pk_add_f16 v30, v23, v10 neg_lo:[0,1] neg_hi:[0,1]
	v_pk_mul_f16 v5, 0xb94ebb7b, v35
	v_pk_add_f16 v26, v23, v10
	v_lshrrev_b32_e32 v4, 1, v4
	v_pk_mul_f16 v6, 0x3bf1394e, v34
	v_pk_add_f16 v31, v22, v17 neg_lo:[0,1] neg_hi:[0,1]
	v_pk_fma_f16 v12, 0xb5acb9fd, v29, v5 op_sel:[0,0,1] op_sel_hi:[1,1,0] neg_lo:[0,0,1] neg_hi:[0,0,1]
	v_pk_mul_f16 v13, 0xba953770, v30
	v_lshl_add_u32 v4, v4, 1, v4
	v_pk_fma_f16 v5, 0xb5acb9fd, v29, v5 op_sel:[0,0,1] op_sel_hi:[1,1,0]
	v_pk_fma_f16 v14, 0xb9fd2fb7, v28, v6 op_sel:[0,0,1] op_sel_hi:[1,1,0] neg_lo:[0,0,1] neg_hi:[0,0,1]
	v_pk_add_f16 v12, v9, v12
	v_pk_add_f16 v27, v22, v17
	v_sub_nc_u32_e32 v3, v3, v4
	v_pk_fma_f16 v4, 0xb9fd2fb7, v28, v6 op_sel:[0,0,1] op_sel_hi:[1,1,0]
	v_pk_fma_f16 v6, 0x3b15388b, v26, v13 op_sel:[0,0,1] op_sel_hi:[1,1,0] neg_lo:[0,0,1] neg_hi:[0,0,1]
	v_pk_add_f16 v5, v9, v5
	v_pk_add_f16 v12, v12, v14
	v_mul_u32_u24_e32 v15, 0x249, v3
	v_pk_mul_f16 v3, 0x33a8bbf1, v31
	v_pk_add_f16 v36, v21, v18 neg_lo:[0,1] neg_hi:[0,1]
	v_pk_add_f16 v33, v21, v18
	v_pk_add_f16 v4, v5, v4
	;; [unrolled: 1-line block ×3, first 2 shown]
	v_pk_fma_f16 v6, 0x3b15388b, v26, v13 op_sel:[0,0,1] op_sel_hi:[1,1,0]
	v_pk_fma_f16 v12, 0x2fb7bbc4, v27, v3 op_sel:[0,0,1] op_sel_hi:[1,1,0] neg_lo:[0,0,1] neg_hi:[0,0,1]
	v_pk_mul_f16 v13, 0x377033a8, v36
	v_pk_mul_f16 v14, 0xb9fdb5ac, v29
	v_pk_fma_f16 v3, 0x2fb7bbc4, v27, v3 op_sel:[0,0,1] op_sel_hi:[1,1,0]
	v_pk_add_f16 v4, v4, v6
	v_pk_add_f16 v5, v5, v12
	v_pk_fma_f16 v6, 0xbbc43b15, v33, v13 op_sel:[0,0,1] op_sel_hi:[1,1,0] neg_lo:[0,0,1] neg_hi:[0,0,1]
	v_pk_fma_f16 v12, 0xbb7bb94e, v35, v14 op_sel:[0,0,1] op_sel_hi:[1,1,0]
	v_pk_fma_f16 v38, 0xbb7bb94e, v35, v14 op_sel:[0,0,1] op_sel_hi:[1,1,0] neg_lo:[0,1,0] neg_hi:[0,1,0]
	v_pk_mul_f16 v14, 0x2fb7b9fd, v28
	v_pk_add_f16 v37, v20, v19 neg_lo:[0,1] neg_hi:[0,1]
	v_pk_add_f16 v32, v20, v19
	v_pk_add_f16 v3, v4, v3
	;; [unrolled: 1-line block ×3, first 2 shown]
	v_bfi_b32 v5, 0xffff, v38, v12
	v_pk_fma_f16 v6, 0x394e3bf1, v34, v14 op_sel:[0,0,1] op_sel_hi:[1,1,0]
	v_pk_fma_f16 v39, 0x394e3bf1, v34, v14 op_sel:[0,0,1] op_sel_hi:[1,1,0] neg_lo:[0,1,0] neg_hi:[0,1,0]
	v_pk_mul_f16 v14, 0x388b3b15, v26
	v_pk_fma_f16 v13, 0xbbc43b15, v33, v13 op_sel:[0,0,1] op_sel_hi:[1,1,0]
	v_pk_mul_f16 v16, 0xbb7b3a95, v37
	v_pk_add_f16 v5, v9, v5 op_sel:[1,0] op_sel_hi:[0,1]
	v_bfi_b32 v41, 0xffff, v39, v6
	v_pk_fma_f16 v44, 0x3770ba95, v30, v14 op_sel:[0,0,1] op_sel_hi:[1,1,0]
	v_pk_fma_f16 v40, 0x3770ba95, v30, v14 op_sel:[0,0,1] op_sel_hi:[1,1,0] neg_lo:[0,1,0] neg_hi:[0,1,0]
	v_pk_mul_f16 v14, 0xbbc42fb7, v27
	v_pk_add_f16 v3, v13, v3
	v_pk_fma_f16 v13, 0x388bb5ac, v32, v16 op_sel:[0,0,1] op_sel_hi:[1,1,0] neg_lo:[0,0,1] neg_hi:[0,0,1]
	v_pk_add_f16 v42, v5, v41
	v_bfi_b32 v43, 0xffff, v40, v44
	v_pk_fma_f16 v45, 0xbbf133a8, v31, v14 op_sel:[0,0,1] op_sel_hi:[1,1,0]
	v_pk_fma_f16 v41, 0xbbf133a8, v31, v14 op_sel:[0,0,1] op_sel_hi:[1,1,0] neg_lo:[0,1,0] neg_hi:[0,1,0]
	v_pk_mul_f16 v14, 0x3b15bbc4, v33
	v_pk_add_f16 v5, v13, v4
	v_pk_fma_f16 v4, 0x388bb5ac, v32, v16 op_sel:[0,0,1] op_sel_hi:[1,1,0]
	v_pk_add_f16 v13, v42, v43
	v_bfi_b32 v16, 0xffff, v41, v45
	v_pk_fma_f16 v46, 0x33a83770, v36, v14 op_sel:[0,0,1] op_sel_hi:[1,1,0]
	v_pk_fma_f16 v42, 0x33a83770, v36, v14 op_sel:[0,0,1] op_sel_hi:[1,1,0] neg_lo:[0,1,0] neg_hi:[0,1,0]
	v_pk_add_f16 v4, v4, v3
	v_lshrrev_b32_e32 v3, 16, v9
	v_pk_add_f16 v13, v13, v16
	v_pk_mul_f16 v47, 0xbbc4, v29 op_sel_hi:[0,1]
	v_bfi_b32 v16, 0xffff, v42, v46
	v_pk_mul_f16 v48, 0x3b15, v28 op_sel_hi:[0,1]
	v_add_f16_e32 v12, v3, v12
	v_pk_mul_f16 v50, 0xb9fd, v26 op_sel_hi:[0,1]
	v_pk_mul_f16 v51, 0x388b, v27 op_sel_hi:[0,1]
	v_pk_add_f16 v13, v16, v13
	v_pk_fma_f16 v16, 0xb3a8, v35, v47 op_sel:[0,0,1] op_sel_hi:[0,1,0]
	v_add_f16_e32 v6, v12, v6
	v_pk_fma_f16 v12, 0xb3a8, v35, v47 op_sel:[0,0,1] op_sel_hi:[0,1,0] neg_lo:[0,1,0] neg_hi:[0,1,0]
	v_pk_fma_f16 v47, 0x3770, v34, v48 op_sel:[0,0,1] op_sel_hi:[0,1,0]
	v_pk_fma_f16 v48, 0x3770, v34, v48 op_sel:[0,0,1] op_sel_hi:[0,1,0] neg_lo:[0,1,0] neg_hi:[0,1,0]
	v_pk_add_f16 v16, v9, v16 op_sel:[1,0] op_sel_hi:[0,1]
	v_add_f16_e32 v6, v6, v44
	v_lshrrev_b32_e32 v44, 16, v12
	v_add_f16_e32 v12, v3, v12
	v_lshrrev_b32_e32 v52, 16, v48
	v_pk_add_f16 v16, v16, v47
	v_pk_fma_f16 v47, 0xb94e, v30, v50 op_sel:[0,0,1] op_sel_hi:[0,1,0]
	v_add_f16_e32 v44, v9, v44
	v_pk_fma_f16 v50, 0xb94e, v30, v50 op_sel:[0,0,1] op_sel_hi:[0,1,0] neg_lo:[0,1,0] neg_hi:[0,1,0]
	v_add_f16_e32 v6, v6, v45
	v_pk_fma_f16 v45, 0x3a95, v31, v51 op_sel:[0,0,1] op_sel_hi:[0,1,0]
	v_pk_add_f16 v16, v16, v47
	v_add_f16_e32 v44, v44, v52
	v_lshrrev_b32_e32 v47, 16, v50
	v_pk_fma_f16 v51, 0x3a95, v31, v51 op_sel:[0,0,1] op_sel_hi:[0,1,0] neg_lo:[0,1,0] neg_hi:[0,1,0]
	v_pk_mul_f16 v52, 0xb5ac, v33 op_sel_hi:[0,1]
	v_add_f16_e32 v12, v12, v48
	v_pk_mul_f16 v14, 0xb5ac388b, v32
	v_pk_add_f16 v16, v16, v45
	v_add_f16_e32 v44, v44, v47
	v_lshrrev_b32_e32 v45, 16, v51
	v_pk_fma_f16 v47, 0xbb7b, v36, v52 op_sel:[0,0,1] op_sel_hi:[0,1,0] neg_lo:[0,1,0] neg_hi:[0,1,0]
	v_pk_mul_f16 v48, 0x2fb7, v32 op_sel_hi:[0,1]
	v_add_f16_e32 v12, v12, v50
	v_pk_fma_f16 v43, 0x3a95bb7b, v37, v14 op_sel:[0,0,1] op_sel_hi:[1,1,0] neg_lo:[0,1,0] neg_hi:[0,1,0]
	v_pk_fma_f16 v14, 0x3a95bb7b, v37, v14 op_sel:[0,0,1] op_sel_hi:[1,1,0]
	v_pk_fma_f16 v52, 0xbb7b, v36, v52 op_sel:[0,0,1] op_sel_hi:[0,1,0]
	v_add_f16_e32 v44, v44, v45
	v_lshrrev_b32_e32 v45, 16, v47
	v_pk_fma_f16 v50, 0x3bf1, v37, v48 op_sel:[0,0,1] op_sel_hi:[0,1,0] neg_lo:[0,1,0] neg_hi:[0,1,0]
	v_add_f16_e32 v12, v12, v51
	v_bfi_b32 v49, 0xffff, v43, v14
	v_add_f16_e32 v6, v46, v6
	v_pk_add_f16 v16, v52, v16
	v_add_f16_e32 v44, v45, v44
	v_lshrrev_b32_e32 v45, 16, v50
	v_pk_fma_f16 v46, 0x3bf1, v37, v48 op_sel:[0,0,1] op_sel_hi:[0,1,0]
	v_add_f16_e32 v47, v47, v12
	v_add_f16_e32 v12, v14, v6
	v_pk_add_f16 v14, v49, v13
	v_add_f16_e32 v6, v45, v44
	v_pk_add_f16 v13, v46, v16
	v_add_f16_e32 v16, v50, v47
	v_lshlrev_b32_e32 v15, 2, v15
	s_mov_b32 s1, exec_lo
	v_cmpx_gt_u32_e32 45, v0
	s_cbranch_execz .LBB0_14
; %bb.13:
	v_lshrrev_b32_e32 v38, 16, v38
	v_lshrrev_b32_e32 v39, 16, v39
	;; [unrolled: 1-line block ×3, first 2 shown]
	v_mul_f16_e32 v44, 0xbbf1, v35
	v_lshrrev_b32_e32 v45, 16, v29
	v_add_f16_e32 v38, v9, v38
	v_lshrrev_b32_e32 v41, 16, v41
	v_mul_f16_e32 v46, 0xb3a8, v34
	v_lshrrev_b32_e32 v42, 16, v42
	v_fmamk_f16 v49, v45, 0x2fb7, v44
	v_add_f16_e32 v38, v38, v39
	v_lshrrev_b32_e32 v39, 16, v28
	v_mul_f16_e32 v47, 0x3b7b, v30
	v_lshrrev_b32_e32 v48, 16, v26
	v_add_f16_e32 v49, v3, v49
	v_add_f16_e32 v38, v38, v40
	v_fmamk_f16 v51, v39, 0xbbc4, v46
	v_lshrrev_b32_e32 v52, 16, v35
	v_lshrrev_b32_e32 v43, 16, v43
	v_mul_f16_e32 v40, 0x3770, v31
	v_add_f16_e32 v38, v38, v41
	v_mul_f16_e32 v41, 0x2fb7, v29
	v_lshrrev_b32_e32 v50, 16, v27
	v_fmamk_f16 v53, v48, 0xb5ac, v47
	v_add_f16_e32 v49, v49, v51
	v_add_f16_e32 v38, v42, v38
	v_mul_f16_e32 v42, 0xbbc4, v28
	v_fmamk_f16 v51, v52, 0x3bf1, v41
	v_lshrrev_b32_e32 v54, 16, v34
	v_add_f16_e32 v49, v49, v53
	v_add_f16_e32 v38, v43, v38
	v_fmamk_f16 v43, v50, 0x3b15, v40
	v_add_f16_e32 v51, v9, v51
	v_fmamk_f16 v53, v54, 0x33a8, v42
	v_mul_f16_e32 v55, 0xb5ac, v26
	v_lshrrev_b32_e32 v56, 16, v30
	v_add_f16_e32 v43, v49, v43
	v_mul_f16_e32 v49, 0xba95, v36
	v_lshrrev_b32_e32 v57, 16, v33
	v_add_f16_e32 v51, v51, v53
	v_fmamk_f16 v53, v56, 0xbb7b, v55
	v_mul_f16_e32 v58, 0x3b15, v27
	v_lshrrev_b32_e32 v59, 16, v31
	v_fmamk_f16 v60, v57, 0x388b, v49
	v_mul_f16_e32 v61, 0xb94e, v37
	v_lshrrev_b32_e32 v62, 16, v32
	v_add_f16_e32 v51, v51, v53
	v_fmamk_f16 v53, v59, 0xb770, v58
	v_mul_f16_e32 v63, 0x388b, v33
	v_lshrrev_b32_e32 v64, 16, v36
	v_add_f16_e32 v43, v60, v43
	v_fmamk_f16 v60, v62, 0xb9fd, v61
	v_add_f16_e32 v51, v51, v53
	v_mul_f16_e32 v53, 0xba95, v35
	v_fmamk_f16 v65, v64, 0x3a95, v63
	v_mul_f16_e32 v66, 0xb9fd, v32
	v_lshrrev_b32_e32 v67, 16, v37
	v_add_f16_e32 v43, v60, v43
	v_fmamk_f16 v60, v45, 0x388b, v53
	v_mul_f16_e32 v68, 0xbb7b, v34
	v_add_f16_e32 v51, v65, v51
	v_fmamk_f16 v65, v67, 0x394e, v66
	v_mul_f16_e32 v69, 0x388b, v29
	;; [unrolled: 3-line block ×6, first 2 shown]
	v_pk_add_f16 v25, v9, v25
	v_fma_f16 v44, v45, 0x2fb7, -v44
	v_add_f16_e32 v60, v60, v70
	v_fmamk_f16 v70, v50, 0xb9fd, v73
	v_mul_f16_e32 v76, 0x3bf1, v36
	v_add_f16_e32 v65, v65, v74
	v_fmamk_f16 v74, v56, 0x33a8, v75
	v_mul_f16_e32 v77, 0xb9fd, v27
	v_pk_add_f16 v24, v25, v24
	v_add_f16_e32 v44, v3, v44
	v_fma_f16 v46, v39, 0xbbc4, -v46
	v_fmac_f16_e32 v41, 0xbbf1, v52
	v_add_f16_e32 v60, v60, v70
	v_fmamk_f16 v70, v57, 0x2fb7, v76
	v_mul_f16_e32 v78, 0x3770, v37
	v_add_f16_e32 v65, v65, v74
	v_fmamk_f16 v74, v59, 0xb94e, v77
	v_mul_f16_e32 v79, 0x2fb7, v33
	v_pk_add_f16 v23, v24, v23
	v_add_f16_e32 v44, v44, v46
	v_fma_f16 v46, v48, 0xb5ac, -v47
	v_add_f16_e32 v41, v9, v41
	v_fmac_f16_e32 v42, 0xb3a8, v54
	v_fma_f16 v53, v45, 0x388b, -v53
	v_add_f16_e32 v60, v70, v60
	v_fmamk_f16 v70, v62, 0x3b15, v78
	v_mul_f16_e32 v35, 0xb770, v35
	v_add_f16_e32 v65, v65, v74
	v_fmamk_f16 v74, v64, 0xbbf1, v79
	v_mul_f16_e32 v80, 0x3b15, v32
	v_pk_add_f16 v22, v23, v22
	v_add_f16_e32 v44, v44, v46
	v_add_f16_e32 v41, v41, v42
	v_add_f16_e32 v42, v3, v53
	v_fma_f16 v46, v39, 0xb5ac, -v68
	v_add_f16_e32 v60, v70, v60
	v_fmamk_f16 v70, v45, 0x3b15, v35
	v_mul_f16_e32 v34, 0xba95, v34
	v_add_f16_e32 v65, v74, v65
	v_fmamk_f16 v74, v67, 0xb770, v80
	v_mul_f16_e32 v29, 0x3b15, v29
	v_pk_add_f16 v21, v22, v21
	v_add_f16_e32 v42, v42, v46
	v_fma_f16 v46, v48, 0xbbc4, -v71
	v_add_f16_e32 v70, v3, v70
	v_fmamk_f16 v81, v39, 0x388b, v34
	v_mul_f16_e32 v30, 0xbbf1, v30
	v_add_f16_e32 v65, v74, v65
	v_fmamk_f16 v74, v52, 0x3770, v29
	v_mul_f16_e32 v28, 0x388b, v28
	v_pk_add_f16 v20, v21, v20
	v_add_f16_e32 v42, v42, v46
	v_fma_f16 v46, v50, 0xb9fd, -v73
	v_fmac_f16_e32 v69, 0xba95, v52
	v_add_f16_e32 v70, v70, v81
	v_fmamk_f16 v81, v48, 0x2fb7, v30
	v_mul_f16_e32 v31, 0xbb7b, v31
	v_add_f16_e32 v74, v9, v74
	v_fmamk_f16 v82, v54, 0x3a95, v28
	v_mul_f16_e32 v26, 0x2fb7, v26
	v_fma_f16 v23, v45, 0x3b15, -v35
	v_fmac_f16_e32 v29, 0xb770, v52
	v_pk_add_f16 v19, v20, v19
	v_fma_f16 v40, v50, 0x3b15, -v40
	v_add_f16_e32 v42, v42, v46
	v_add_f16_e32 v46, v9, v69
	v_fmac_f16_e32 v72, 0xbb7b, v54
	v_add_f16_e32 v70, v70, v81
	v_fmamk_f16 v81, v50, 0xb5ac, v31
	v_mul_f16_e32 v36, 0xb94e, v36
	v_add_f16_e32 v74, v74, v82
	v_fmamk_f16 v82, v56, 0x3bf1, v26
	v_mul_f16_e32 v27, 0xb5ac, v27
	v_add_f16_e32 v3, v3, v23
	v_fma_f16 v22, v39, 0x388b, -v34
	v_add_f16_e32 v9, v9, v29
	v_fmac_f16_e32 v28, 0xba95, v54
	v_pk_add_f16 v18, v19, v18
	v_fmac_f16_e32 v55, 0x3b7b, v56
	v_add_f16_e32 v40, v44, v40
	v_fma_f16 v44, v57, 0x388b, -v49
	v_add_f16_e32 v24, v46, v72
	v_fmac_f16_e32 v75, 0xb3a8, v56
	v_add_f16_e32 v70, v70, v81
	v_fmamk_f16 v81, v57, 0xb9fd, v36
	v_mul_f16_e32 v37, 0xb3a8, v37
	v_add_f16_e32 v74, v74, v82
	v_fmamk_f16 v82, v59, 0x3b7b, v27
	v_mul_f16_e32 v33, 0xb9fd, v33
	v_add_f16_e32 v3, v3, v22
	v_fma_f16 v22, v48, 0x2fb7, -v30
	v_add_f16_e32 v9, v9, v28
	v_fmac_f16_e32 v26, 0xbbf1, v56
	v_pk_add_f16 v17, v18, v17
	v_add_f16_e32 v41, v41, v55
	v_fmac_f16_e32 v58, 0x3770, v59
	v_add_f16_e32 v40, v44, v40
	v_fma_f16 v44, v62, 0xb9fd, -v61
	v_add_f16_e32 v24, v24, v75
	v_fmac_f16_e32 v77, 0x394e, v59
	v_add_f16_e32 v70, v81, v70
	v_fmamk_f16 v81, v62, 0xbbc4, v37
	v_add_f16_e32 v74, v74, v82
	v_fmamk_f16 v82, v64, 0x394e, v33
	v_mul_f16_e32 v32, 0xbbc4, v32
	v_add_f16_e32 v3, v3, v22
	v_fma_f16 v20, v50, 0xb5ac, -v31
	v_add_f16_e32 v9, v9, v26
	v_fmac_f16_e32 v27, 0xbb7b, v59
	v_pk_add_f16 v10, v10, v17
	v_add_f16_e32 v41, v41, v58
	v_fmac_f16_e32 v63, 0xba95, v64
	v_add_f16_e32 v40, v44, v40
	v_fma_f16 v44, v57, 0x2fb7, -v76
	v_add_f16_e32 v21, v24, v77
	v_fmac_f16_e32 v79, 0x3bf1, v64
	v_add_f16_e32 v70, v81, v70
	v_add_f16_e32 v74, v82, v74
	v_fmamk_f16 v81, v67, 0x33a8, v32
	v_add_f16_e32 v3, v3, v20
	v_fma_f16 v18, v57, 0xb9fd, -v36
	v_add_f16_e32 v9, v9, v27
	v_fmac_f16_e32 v33, 0xb94e, v64
	v_pk_add_f16 v8, v8, v10
	v_mul_u32_u24_e32 v10, 52, v0
	v_add_f16_e32 v41, v63, v41
	v_fmac_f16_e32 v66, 0xb94e, v67
	v_add_f16_e32 v25, v44, v42
	v_fma_f16 v42, v62, 0x3b15, -v78
	v_add_f16_e32 v19, v79, v21
	v_fmac_f16_e32 v80, 0x3770, v67
	v_add_f16_e32 v47, v81, v74
	v_add_f16_e32 v3, v18, v3
	v_fma_f16 v17, v62, 0xbbc4, -v37
	v_add_f16_e32 v9, v33, v9
	v_fmac_f16_e32 v32, 0xb3a8, v67
	v_pk_add_f16 v7, v7, v8
	v_add3_u32 v8, 0, v10, v15
	v_perm_b32 v10, v12, v5, 0x5040100
	v_add_f16_e32 v41, v66, v41
	v_add_f16_e32 v25, v42, v25
	;; [unrolled: 1-line block ×5, first 2 shown]
	v_pack_b32_f16 v17, v65, v60
	v_pack_b32_f16 v19, v47, v70
	;; [unrolled: 1-line block ×3, first 2 shown]
	v_bfi_b32 v21, 0xffff, v38, v4
	ds_store_2addr_b32 v8, v7, v10 offset1:5
	v_perm_b32 v7, v13, v6, 0x5040100
	v_alignbit_b32 v10, v16, v13, 16
	v_perm_b32 v22, v5, v14, 0x7060302
	v_perm_b32 v23, v14, v4, 0x5040100
	v_pack_b32_f16 v18, v18, v25
	v_pack_b32_f16 v24, v41, v40
	;; [unrolled: 1-line block ×3, first 2 shown]
	ds_store_2addr_b32 v8, v19, v17 offset0:1 offset1:2
	ds_store_2addr_b32 v8, v20, v21 offset0:3 offset1:4
	;; [unrolled: 1-line block ×5, first 2 shown]
	ds_store_b32 v8, v3 offset:48
.LBB0_14:
	s_wait_alu 0xfffe
	s_or_b32 exec_lo, exec_lo, s1
	v_lshlrev_b32_e32 v3, 2, v0
	global_wb scope:SCOPE_SE
	s_wait_dscnt 0x0
	s_barrier_signal -1
	s_barrier_wait -1
	global_inv scope:SCOPE_SE
	v_add3_u32 v18, 0, v3, v15
	v_add3_u32 v17, 0, v15, v3
	v_cmp_gt_u32_e64 s0, 52, v0
	v_lshrrev_b32_e32 v3, 16, v13
	v_lshrrev_b32_e32 v19, 16, v14
	v_add_nc_u32_e32 v21, 0x400, v18
	ds_load_b32 v20, v17
	ds_load_2addr_b32 v[9:10], v18 offset0:117 offset1:234
	ds_load_2addr_b32 v[7:8], v21 offset0:95 offset1:212
	s_and_saveexec_b32 s1, s0
	s_cbranch_execz .LBB0_16
; %bb.15:
	ds_load_2addr_b32 v[5:6], v18 offset0:65 offset1:182
	ds_load_2addr_b32 v[3:4], v21 offset0:43 offset1:160
	ds_load_b32 v19, v18 offset:2132
	s_wait_dscnt 0x2
	v_lshrrev_b32_e32 v12, 16, v5
	v_lshrrev_b32_e32 v13, 16, v6
	s_wait_dscnt 0x1
	v_lshrrev_b32_e32 v16, 16, v3
	v_lshrrev_b32_e32 v14, 16, v4
	s_wait_dscnt 0x0
	v_bfi_b32 v5, 0xffff, v5, v19
.LBB0_16:
	s_wait_alu 0xfffe
	s_or_b32 exec_lo, exec_lo, s1
	v_and_b32_e32 v21, 0xff, v0
	s_wait_dscnt 0x1
	v_lshrrev_b32_e32 v28, 16, v9
	v_lshrrev_b32_e32 v29, 16, v10
	s_wait_dscnt 0x0
	v_lshrrev_b32_e32 v30, 16, v7
	v_lshrrev_b32_e32 v31, 16, v8
	v_mul_lo_u16 v21, 0x4f, v21
	v_lshrrev_b32_e32 v27, 16, v20
	s_delay_alu instid0(VALU_DEP_2) | instskip(NEXT) | instid1(VALU_DEP_1)
	v_lshrrev_b16 v25, 10, v21
	v_mul_lo_u16 v21, v25, 13
	v_and_b32_e32 v25, 0xffff, v25
	s_delay_alu instid0(VALU_DEP_2) | instskip(NEXT) | instid1(VALU_DEP_2)
	v_sub_nc_u16 v21, v0, v21
	v_mad_u32_u24 v25, 0x104, v25, 0
	s_delay_alu instid0(VALU_DEP_2) | instskip(NEXT) | instid1(VALU_DEP_1)
	v_and_b32_e32 v26, 0xff, v21
	v_lshlrev_b32_e32 v21, 4, v26
	v_lshlrev_b32_e32 v26, 2, v26
	global_load_b128 v[21:24], v21, s[4:5]
	v_add3_u32 v25, v25, v26, v15
	global_wb scope:SCOPE_SE
	s_wait_loadcnt 0x0
	s_barrier_signal -1
	s_barrier_wait -1
	global_inv scope:SCOPE_SE
	v_lshrrev_b32_e32 v32, 16, v21
	v_lshrrev_b32_e32 v26, 16, v22
	;; [unrolled: 1-line block ×4, first 2 shown]
	s_delay_alu instid0(VALU_DEP_4)
	v_mul_f16_e32 v35, v32, v28
	v_mul_f16_e32 v32, v32, v9
	;; [unrolled: 1-line block ×8, first 2 shown]
	v_fma_f16 v9, v21, v9, -v35
	v_fmac_f16_e32 v32, v21, v28
	v_fma_f16 v10, v22, v10, -v36
	v_fmac_f16_e32 v26, v22, v29
	;; [unrolled: 2-line block ×4, first 2 shown]
	v_add_f16_e32 v21, v20, v9
	v_add_f16_e32 v22, v10, v7
	v_sub_f16_e32 v28, v9, v10
	v_sub_f16_e32 v29, v8, v7
	v_add_f16_e32 v36, v27, v32
	v_add_f16_e32 v37, v26, v33
	;; [unrolled: 1-line block ×4, first 2 shown]
	v_sub_f16_e32 v23, v32, v34
	v_sub_f16_e32 v24, v26, v33
	;; [unrolled: 1-line block ×7, first 2 shown]
	v_add_f16_e32 v10, v21, v10
	v_fma_f16 v21, -0.5, v22, v20
	v_add_f16_e32 v22, v28, v29
	v_add_f16_e32 v26, v36, v26
	v_fma_f16 v29, -0.5, v37, v27
	v_sub_f16_e32 v35, v7, v8
	v_sub_f16_e32 v42, v33, v34
	v_fmac_f16_e32 v20, -0.5, v30
	v_fmac_f16_e32 v27, -0.5, v41
	v_sub_f16_e32 v40, v34, v33
	v_add_f16_e32 v7, v10, v7
	v_fmamk_f16 v10, v23, 0x3b9c, v21
	v_add_f16_e32 v26, v26, v33
	v_fmamk_f16 v33, v9, 0xbb9c, v29
	v_add_f16_e32 v28, v31, v35
	v_add_f16_e32 v31, v32, v42
	v_fmamk_f16 v32, v24, 0xbb9c, v20
	v_fmac_f16_e32 v20, 0x3b9c, v24
	v_fmamk_f16 v35, v38, 0x3b9c, v27
	v_fmac_f16_e32 v27, 0xbb9c, v38
	v_fmac_f16_e32 v21, 0xbb9c, v23
	;; [unrolled: 1-line block ×3, first 2 shown]
	v_add_f16_e32 v30, v39, v40
	v_fmac_f16_e32 v10, 0x38b4, v24
	v_fmac_f16_e32 v33, 0xb8b4, v38
	;; [unrolled: 1-line block ×8, first 2 shown]
	v_add_f16_e32 v7, v7, v8
	v_add_f16_e32 v8, v26, v34
	v_fmac_f16_e32 v10, 0x34f2, v22
	v_fmac_f16_e32 v33, 0x34f2, v30
	;; [unrolled: 1-line block ×8, first 2 shown]
	v_pack_b32_f16 v7, v7, v8
	v_pack_b32_f16 v8, v10, v33
	;; [unrolled: 1-line block ×5, first 2 shown]
	ds_store_2addr_b32 v25, v7, v8 offset1:13
	ds_store_2addr_b32 v25, v9, v10 offset0:26 offset1:39
	ds_store_b32 v25, v20 offset:208
	s_and_saveexec_b32 s1, s0
	s_cbranch_execz .LBB0_18
; %bb.17:
	v_add_nc_u16 v7, v0, 0x41
	v_lshrrev_b32_e32 v22, 16, v5
	s_delay_alu instid0(VALU_DEP_2) | instskip(NEXT) | instid1(VALU_DEP_1)
	v_and_b32_e32 v8, 0xff, v7
	v_mul_lo_u16 v8, 0x4f, v8
	s_delay_alu instid0(VALU_DEP_1) | instskip(NEXT) | instid1(VALU_DEP_1)
	v_lshrrev_b16 v20, 10, v8
	v_mul_lo_u16 v8, v20, 13
	v_and_b32_e32 v20, 0xffff, v20
	s_delay_alu instid0(VALU_DEP_2) | instskip(NEXT) | instid1(VALU_DEP_2)
	v_sub_nc_u16 v7, v7, v8
	v_mad_u32_u24 v20, 0x104, v20, 0
	s_delay_alu instid0(VALU_DEP_2) | instskip(NEXT) | instid1(VALU_DEP_1)
	v_and_b32_e32 v21, 0xff, v7
	v_lshlrev_b32_e32 v7, 4, v21
	v_lshlrev_b32_e32 v21, 2, v21
	global_load_b128 v[7:10], v7, s[4:5]
	v_add3_u32 v15, v20, v21, v15
	s_wait_loadcnt 0x0
	v_lshrrev_b32_e32 v23, 16, v8
	v_lshrrev_b32_e32 v24, 16, v7
	v_lshrrev_b32_e32 v25, 16, v9
	v_lshrrev_b32_e32 v26, 16, v10
	s_delay_alu instid0(VALU_DEP_4) | instskip(NEXT) | instid1(VALU_DEP_4)
	v_mul_f16_e32 v20, v3, v23
	v_mul_f16_e32 v21, v6, v24
	s_delay_alu instid0(VALU_DEP_4) | instskip(NEXT) | instid1(VALU_DEP_4)
	v_mul_f16_e32 v27, v4, v25
	v_mul_f16_e32 v28, v19, v26
	;; [unrolled: 1-line block ×6, first 2 shown]
	v_fmac_f16_e32 v20, v16, v8
	v_fmac_f16_e32 v21, v13, v7
	;; [unrolled: 1-line block ×4, first 2 shown]
	v_fma_f16 v6, v6, v7, -v24
	v_fma_f16 v7, v19, v10, -v26
	;; [unrolled: 1-line block ×4, first 2 shown]
	v_sub_f16_e32 v8, v20, v21
	v_sub_f16_e32 v9, v27, v28
	v_add_f16_e32 v13, v21, v28
	v_sub_f16_e32 v16, v3, v6
	v_sub_f16_e32 v19, v4, v7
	v_add_f16_e32 v22, v6, v7
	v_add_f16_e32 v29, v20, v27
	v_add_f16_e32 v32, v3, v4
	v_sub_f16_e32 v10, v6, v7
	v_sub_f16_e32 v24, v21, v28
	;; [unrolled: 1-line block ×5, first 2 shown]
	v_add_f16_e32 v21, v12, v21
	v_add_f16_e32 v6, v5, v6
	;; [unrolled: 1-line block ×3, first 2 shown]
	v_fma_f16 v9, -0.5, v13, v12
	v_add_f16_e32 v13, v16, v19
	v_fma_f16 v16, -0.5, v22, v5
	v_fma_f16 v12, -0.5, v29, v12
	;; [unrolled: 1-line block ×3, first 2 shown]
	v_sub_f16_e32 v14, v3, v4
	v_sub_f16_e32 v23, v20, v27
	;; [unrolled: 1-line block ×3, first 2 shown]
	v_add_f16_e32 v19, v25, v26
	v_add_f16_e32 v20, v21, v20
	v_add_f16_e32 v3, v6, v3
	v_fmamk_f16 v25, v10, 0xbb9c, v12
	v_fmamk_f16 v26, v24, 0x3b9c, v5
	;; [unrolled: 1-line block ×4, first 2 shown]
	v_fmac_f16_e32 v9, 0x3b9c, v14
	v_fmac_f16_e32 v16, 0xbb9c, v23
	;; [unrolled: 1-line block ×4, first 2 shown]
	v_add_f16_e32 v22, v30, v31
	v_add_f16_e32 v20, v20, v27
	;; [unrolled: 1-line block ×3, first 2 shown]
	v_fmac_f16_e32 v25, 0xb8b4, v14
	v_fmac_f16_e32 v26, 0x38b4, v23
	;; [unrolled: 1-line block ×8, first 2 shown]
	v_add_f16_e32 v4, v20, v28
	v_add_f16_e32 v3, v3, v7
	v_fmac_f16_e32 v25, 0x34f2, v19
	v_fmac_f16_e32 v26, 0x34f2, v22
	;; [unrolled: 1-line block ×8, first 2 shown]
	v_pack_b32_f16 v3, v3, v4
	v_pack_b32_f16 v4, v26, v25
	;; [unrolled: 1-line block ×5, first 2 shown]
	ds_store_2addr_b32 v15, v3, v4 offset1:13
	ds_store_2addr_b32 v15, v7, v6 offset0:26 offset1:39
	ds_store_b32 v15, v5 offset:208
.LBB0_18:
	s_wait_alu 0xfffe
	s_or_b32 exec_lo, exec_lo, s1
	global_wb scope:SCOPE_SE
	s_wait_dscnt 0x0
	s_barrier_signal -1
	s_barrier_wait -1
	global_inv scope:SCOPE_SE
	s_and_saveexec_b32 s0, vcc_lo
	s_cbranch_execz .LBB0_20
; %bb.19:
	v_dual_mov_b32 v4, 0 :: v_dual_lshlrev_b32 v3, 3, v0
	v_mad_co_u64_u32 v[14:15], null, s8, v11, 0
	v_add_nc_u32_e32 v39, 0x82, v11
	v_add_nc_u32_e32 v41, 0x104, v11
	s_delay_alu instid0(VALU_DEP_4)
	v_lshlrev_b64_e32 v[3:4], 2, v[3:4]
	v_add_nc_u32_e32 v43, 0x186, v11
	v_lshlrev_b64_e32 v[0:1], 2, v[1:2]
	v_mad_co_u64_u32 v[24:25], null, s8, v39, 0
	v_mad_co_u64_u32 v[28:29], null, s8, v41, 0
	v_add_co_u32 v7, vcc_lo, s4, v3
	s_wait_alu 0xfffd
	v_add_co_ci_u32_e32 v8, vcc_lo, s5, v4, vcc_lo
	v_mad_co_u64_u32 v[32:33], null, s8, v43, 0
	s_clause 0x1
	global_load_b128 v[3:6], v[7:8], off offset:208
	global_load_b128 v[7:10], v[7:8], off offset:224
	v_dual_mov_b32 v2, v15 :: v_dual_add_nc_u32 v19, 0x200, v18
	v_dual_mov_b32 v15, v29 :: v_dual_add_nc_u32 v38, 0x41, v11
	v_add_nc_u32_e32 v42, 0x145, v11
	v_add_co_u32 v47, vcc_lo, s10, v0
	s_delay_alu instid0(VALU_DEP_3)
	v_mad_co_u64_u32 v[22:23], null, s8, v38, 0
	s_wait_alu 0xfffd
	v_add_co_ci_u32_e32 v48, vcc_lo, s11, v1, vcc_lo
	v_add_nc_u32_e32 v16, 0x600, v18
	ds_load_2addr_b32 v[12:13], v18 offset0:65 offset1:130
	ds_load_b32 v45, v17
	v_add_nc_u32_e32 v44, 0x1c7, v11
	v_add_nc_u32_e32 v46, 0x208, v11
	s_delay_alu instid0(VALU_DEP_2) | instskip(NEXT) | instid1(VALU_DEP_2)
	v_mad_co_u64_u32 v[34:35], null, s8, v44, 0
	v_mad_co_u64_u32 v[36:37], null, s8, v46, 0
	s_delay_alu instid0(VALU_DEP_1)
	v_mov_b32_e32 v29, v37
	s_wait_loadcnt 0x1
	v_mad_co_u64_u32 v[0:1], null, s9, v11, v[2:3]
	v_dual_mov_b32 v2, v25 :: v_dual_mov_b32 v25, v33
	v_mad_co_u64_u32 v[30:31], null, s8, v42, 0
	v_dual_mov_b32 v1, v23 :: v_dual_add_nc_u32 v40, 0xc3, v11
	s_delay_alu instid0(VALU_DEP_2) | instskip(NEXT) | instid1(VALU_DEP_2)
	v_mov_b32_e32 v23, v31
	v_mad_co_u64_u32 v[26:27], null, s8, v40, 0
	v_add_nc_u32_e32 v20, 0x400, v18
	s_delay_alu instid0(VALU_DEP_4)
	v_mad_co_u64_u32 v[37:38], null, s9, v38, v[1:2]
	v_mad_co_u64_u32 v[1:2], null, s9, v39, v[2:3]
	s_wait_dscnt 0x1
	v_lshrrev_b32_e32 v2, 16, v12
	v_mov_b32_e32 v11, v27
	ds_load_2addr_b32 v[16:17], v16 offset0:71 offset1:136
	ds_load_2addr_b32 v[18:19], v19 offset0:67 offset1:132
	ds_load_2addr_b32 v[20:21], v20 offset0:69 offset1:134
	v_mov_b32_e32 v27, v35
	v_mad_co_u64_u32 v[38:39], null, s9, v40, v[11:12]
	v_lshrrev_b32_e32 v11, 16, v13
	s_delay_alu instid0(VALU_DEP_1)
	v_mul_f16_e32 v56, v4, v11
	s_wait_dscnt 0x2
	v_mad_co_u64_u32 v[39:40], null, s9, v41, v[15:16]
	v_mov_b32_e32 v15, v0
	v_mad_co_u64_u32 v[40:41], null, s9, v42, v[23:24]
	v_mov_b32_e32 v23, v37
	v_mad_co_u64_u32 v[41:42], null, s9, v43, v[25:26]
	s_delay_alu instid0(VALU_DEP_4) | instskip(SKIP_1) | instid1(VALU_DEP_4)
	v_lshlrev_b64_e32 v[14:15], 2, v[14:15]
	v_mov_b32_e32 v25, v1
	v_lshlrev_b64_e32 v[0:1], 2, v[22:23]
	v_mad_co_u64_u32 v[42:43], null, s9, v44, v[27:28]
	v_mov_b32_e32 v27, v38
	s_delay_alu instid0(VALU_DEP_4)
	v_lshlrev_b64_e32 v[22:23], 2, v[24:25]
	v_add_co_u32 v14, vcc_lo, v47, v14
	v_mad_co_u64_u32 v[43:44], null, s9, v46, v[29:30]
	v_mov_b32_e32 v29, v39
	s_wait_alu 0xfffd
	v_add_co_ci_u32_e32 v15, vcc_lo, v48, v15, vcc_lo
	v_lshlrev_b64_e32 v[24:25], 2, v[26:27]
	v_add_co_u32 v0, vcc_lo, v47, v0
	v_mov_b32_e32 v31, v40
	s_wait_alu 0xfffd
	v_add_co_ci_u32_e32 v1, vcc_lo, v48, v1, vcc_lo
	v_lshlrev_b64_e32 v[26:27], 2, v[28:29]
	v_add_co_u32 v22, vcc_lo, v47, v22
	;; [unrolled: 5-line block ×5, first 2 shown]
	s_wait_alu 0xfffd
	v_add_co_ci_u32_e32 v29, vcc_lo, v48, v29, vcc_lo
	v_lshlrev_b64_e32 v[34:35], 2, v[36:37]
	v_add_co_u32 v30, vcc_lo, v47, v30
	s_wait_dscnt 0x0
	v_lshrrev_b32_e32 v50, 16, v21
	v_lshrrev_b32_e32 v51, 16, v16
	s_wait_alu 0xfffd
	v_add_co_ci_u32_e32 v31, vcc_lo, v48, v31, vcc_lo
	v_add_co_u32 v32, vcc_lo, v47, v32
	s_wait_alu 0xfffd
	v_add_co_ci_u32_e32 v33, vcc_lo, v48, v33, vcc_lo
	v_lshrrev_b32_e32 v46, 16, v17
	v_lshrrev_b32_e32 v49, 16, v18
	;; [unrolled: 1-line block ×4, first 2 shown]
	v_add_co_u32 v34, vcc_lo, v47, v34
	v_lshrrev_b32_e32 v36, 16, v3
	v_lshrrev_b32_e32 v37, 16, v4
	s_wait_loadcnt 0x0
	v_lshrrev_b32_e32 v42, 16, v8
	v_lshrrev_b32_e32 v43, 16, v9
	v_lshrrev_b32_e32 v47, 16, v10
	v_mul_f16_e32 v55, v8, v50
	v_mul_f16_e32 v57, v9, v51
	s_wait_alu 0xfffd
	v_add_co_ci_u32_e32 v35, vcc_lo, v48, v35, vcc_lo
	v_lshrrev_b32_e32 v38, 16, v5
	v_lshrrev_b32_e32 v39, 16, v6
	v_mul_f16_e32 v40, v3, v2
	v_lshrrev_b32_e32 v41, 16, v7
	v_mul_f16_e32 v48, v10, v46
	v_mul_f16_e32 v54, v5, v49
	;; [unrolled: 1-line block ×4, first 2 shown]
	v_fmac_f16_e32 v55, v42, v21
	v_fmac_f16_e32 v56, v37, v13
	;; [unrolled: 1-line block ×3, first 2 shown]
	v_mul_f16_e32 v43, v43, v51
	v_mul_f16_e32 v11, v37, v11
	;; [unrolled: 1-line block ×5, first 2 shown]
	v_fmac_f16_e32 v40, v36, v12
	v_fmac_f16_e32 v48, v47, v17
	;; [unrolled: 1-line block ×5, first 2 shown]
	v_mul_f16_e32 v41, v41, v53
	v_mul_f16_e32 v39, v39, v52
	;; [unrolled: 1-line block ×3, first 2 shown]
	v_fma_f16 v9, v16, v9, -v43
	v_fma_f16 v4, v4, v13, -v11
	;; [unrolled: 1-line block ×4, first 2 shown]
	v_sub_f16_e32 v49, v58, v59
	v_fma_f16 v7, v7, v20, -v41
	v_fma_f16 v6, v6, v19, -v39
	;; [unrolled: 1-line block ×4, first 2 shown]
	v_add_f16_e32 v11, v56, v57
	v_add_f16_e32 v13, v40, v48
	;; [unrolled: 1-line block ×4, first 2 shown]
	v_sub_f16_e32 v36, v40, v48
	v_sub_f16_e32 v47, v56, v57
	v_add_f16_e32 v12, v54, v55
	v_mul_f16_e32 v16, 0x3be1, v49
	v_add_f16_e32 v19, v5, v8
	v_sub_f16_e32 v2, v2, v10
	v_sub_f16_e32 v5, v5, v8
	;; [unrolled: 1-line block ×4, first 2 shown]
	v_add_f16_e32 v10, v13, v11
	v_add_f16_e32 v48, v20, v18
	v_sub_f16_e32 v46, v54, v55
	v_fma_f16 v16, v47, 0xb924, -v16
	v_mul_f16_e32 v42, 0x3be1, v8
	v_add_f16_e32 v43, v12, v10
	v_mul_f16_e32 v53, 0xb924, v8
	v_mul_f16_e32 v54, 0x3be1, v4
	v_add_f16_e32 v55, v19, v48
	v_lshrrev_b32_e32 v44, 16, v45
	v_add_f16_e32 v3, v58, v59
	v_add_f16_e32 v17, v6, v7
	v_mul_f16_e32 v38, 0xb924, v49
	v_mul_f16_e32 v40, 0x3be1, v47
	v_fmac_f16_e32 v16, 0x3aee, v46
	v_fma_f16 v42, v4, 0xb924, -v42
	v_add_f16_e32 v43, v43, v58
	v_fmac_f16_e32 v53, 0x3be1, v2
	v_fmac_f16_e32 v54, 0x3924, v2
	v_add_f16_e32 v6, v55, v6
	v_add_f16_e32 v21, v36, v49
	v_add_f16_e32 v37, v12, v44
	v_add_f16_e32 v10, v10, v3
	v_add_f16_e32 v51, v2, v8
	v_fmac_f16_e32 v38, 0x3be1, v36
	v_fmac_f16_e32 v40, 0x3924, v36
	v_fmac_f16_e32 v16, 0x3579, v36
	v_fmac_f16_e32 v42, 0x3aee, v5
	v_add_f16_e32 v36, v43, v59
	v_fmac_f16_e32 v53, 0xbaee, v5
	v_fmac_f16_e32 v54, 0x3aee, v5
	v_add_f16_e32 v5, v6, v7
	v_fmamk_f16 v9, v11, 0x3a21, v44
	v_fmamk_f16 v41, v18, 0x3a21, v45
	;; [unrolled: 1-line block ×4, first 2 shown]
	v_add_f16_e32 v50, v19, v45
	v_fmac_f16_e32 v37, -0.5, v10
	v_sub_f16_e32 v10, v51, v4
	v_fmac_f16_e32 v42, 0x3579, v2
	v_add_f16_e32 v2, v44, v36
	v_fmac_f16_e32 v53, 0x3579, v4
	v_fmac_f16_e32 v44, 0x3a21, v13
	v_add_f16_e32 v4, v45, v5
	v_fmac_f16_e32 v45, 0x3a21, v20
	v_fmac_f16_e32 v9, 0x318f, v3
	;; [unrolled: 1-line block ×5, first 2 shown]
	v_add_f16_e32 v48, v48, v17
	v_fmac_f16_e32 v44, 0x318f, v11
	v_fmac_f16_e32 v45, 0x318f, v18
	v_fmac_f16_e32 v9, -0.5, v12
	v_fmac_f16_e32 v41, -0.5, v19
	v_fmac_f16_e32 v38, 0xbaee, v46
	v_fmac_f16_e32 v39, -0.5, v12
	v_fmac_f16_e32 v52, -0.5, v19
	v_sub_f16_e32 v21, v21, v47
	v_fmac_f16_e32 v40, 0x3aee, v46
	v_fmac_f16_e32 v50, -0.5, v48
	v_fmac_f16_e32 v44, -0.5, v12
	v_fmac_f16_e32 v45, -0.5, v19
	v_fmac_f16_e32 v9, 0xbb84, v13
	v_fmac_f16_e32 v41, 0xbb84, v20
	;; [unrolled: 1-line block ×5, first 2 shown]
	v_mul_f16_e32 v56, 0x3aee, v21
	v_mul_f16_e32 v43, 0x3aee, v10
	v_fmac_f16_e32 v37, 0xbaee, v10
	v_fmac_f16_e32 v40, 0x3579, v49
	;; [unrolled: 1-line block ×6, first 2 shown]
	v_add_f16_e32 v5, v16, v41
	v_sub_f16_e32 v7, v9, v42
	v_add_f16_e32 v9, v38, v52
	v_sub_f16_e32 v10, v39, v53
	v_fma_f16 v6, 2.0, v43, v37
	v_fma_f16 v8, -2.0, v56, v50
	v_pack_b32_f16 v2, v4, v2
	v_sub_f16_e32 v4, v44, v54
	v_add_f16_e32 v17, v40, v45
	v_fma_f16 v12, -2.0, v16, v5
	v_fma_f16 v13, 2.0, v42, v7
	v_fma_f16 v3, -2.0, v38, v9
	v_fma_f16 v16, 2.0, v53, v10
	v_pack_b32_f16 v6, v8, v6
	global_store_b32 v[14:15], v2, off
	v_pack_b32_f16 v2, v17, v4
	v_fma_f16 v4, 2.0, v54, v4
	v_fma_f16 v8, -2.0, v40, v17
	v_pack_b32_f16 v9, v9, v10
	v_pack_b32_f16 v5, v5, v7
	;; [unrolled: 1-line block ×5, first 2 shown]
	s_clause 0x2
	global_store_b32 v[0:1], v2, off
	global_store_b32 v[22:23], v9, off
	;; [unrolled: 1-line block ×3, first 2 shown]
	v_pack_b32_f16 v0, v8, v4
	s_clause 0x4
	global_store_b32 v[26:27], v5, off
	global_store_b32 v[28:29], v7, off
	;; [unrolled: 1-line block ×5, first 2 shown]
.LBB0_20:
	s_nop 0
	s_sendmsg sendmsg(MSG_DEALLOC_VGPRS)
	s_endpgm
	.section	.rodata,"a",@progbits
	.p2align	6, 0x0
	.amdhsa_kernel fft_rtc_fwd_len585_factors_13_5_9_wgs_195_tpt_65_half_ip_CI_sbrr_dirReg
		.amdhsa_group_segment_fixed_size 0
		.amdhsa_private_segment_fixed_size 0
		.amdhsa_kernarg_size 88
		.amdhsa_user_sgpr_count 2
		.amdhsa_user_sgpr_dispatch_ptr 0
		.amdhsa_user_sgpr_queue_ptr 0
		.amdhsa_user_sgpr_kernarg_segment_ptr 1
		.amdhsa_user_sgpr_dispatch_id 0
		.amdhsa_user_sgpr_private_segment_size 0
		.amdhsa_wavefront_size32 1
		.amdhsa_uses_dynamic_stack 0
		.amdhsa_enable_private_segment 0
		.amdhsa_system_sgpr_workgroup_id_x 1
		.amdhsa_system_sgpr_workgroup_id_y 0
		.amdhsa_system_sgpr_workgroup_id_z 0
		.amdhsa_system_sgpr_workgroup_info 0
		.amdhsa_system_vgpr_workitem_id 0
		.amdhsa_next_free_vgpr 83
		.amdhsa_next_free_sgpr 35
		.amdhsa_reserve_vcc 1
		.amdhsa_float_round_mode_32 0
		.amdhsa_float_round_mode_16_64 0
		.amdhsa_float_denorm_mode_32 3
		.amdhsa_float_denorm_mode_16_64 3
		.amdhsa_fp16_overflow 0
		.amdhsa_workgroup_processor_mode 1
		.amdhsa_memory_ordered 1
		.amdhsa_forward_progress 0
		.amdhsa_round_robin_scheduling 0
		.amdhsa_exception_fp_ieee_invalid_op 0
		.amdhsa_exception_fp_denorm_src 0
		.amdhsa_exception_fp_ieee_div_zero 0
		.amdhsa_exception_fp_ieee_overflow 0
		.amdhsa_exception_fp_ieee_underflow 0
		.amdhsa_exception_fp_ieee_inexact 0
		.amdhsa_exception_int_div_zero 0
	.end_amdhsa_kernel
	.text
.Lfunc_end0:
	.size	fft_rtc_fwd_len585_factors_13_5_9_wgs_195_tpt_65_half_ip_CI_sbrr_dirReg, .Lfunc_end0-fft_rtc_fwd_len585_factors_13_5_9_wgs_195_tpt_65_half_ip_CI_sbrr_dirReg
                                        ; -- End function
	.section	.AMDGPU.csdata,"",@progbits
; Kernel info:
; codeLenInByte = 8320
; NumSgprs: 37
; NumVgprs: 83
; ScratchSize: 0
; MemoryBound: 0
; FloatMode: 240
; IeeeMode: 1
; LDSByteSize: 0 bytes/workgroup (compile time only)
; SGPRBlocks: 4
; VGPRBlocks: 10
; NumSGPRsForWavesPerEU: 37
; NumVGPRsForWavesPerEU: 83
; Occupancy: 16
; WaveLimiterHint : 1
; COMPUTE_PGM_RSRC2:SCRATCH_EN: 0
; COMPUTE_PGM_RSRC2:USER_SGPR: 2
; COMPUTE_PGM_RSRC2:TRAP_HANDLER: 0
; COMPUTE_PGM_RSRC2:TGID_X_EN: 1
; COMPUTE_PGM_RSRC2:TGID_Y_EN: 0
; COMPUTE_PGM_RSRC2:TGID_Z_EN: 0
; COMPUTE_PGM_RSRC2:TIDIG_COMP_CNT: 0
	.text
	.p2alignl 7, 3214868480
	.fill 96, 4, 3214868480
	.type	__hip_cuid_3d83a8296af283f7,@object ; @__hip_cuid_3d83a8296af283f7
	.section	.bss,"aw",@nobits
	.globl	__hip_cuid_3d83a8296af283f7
__hip_cuid_3d83a8296af283f7:
	.byte	0                               ; 0x0
	.size	__hip_cuid_3d83a8296af283f7, 1

	.ident	"AMD clang version 19.0.0git (https://github.com/RadeonOpenCompute/llvm-project roc-6.4.0 25133 c7fe45cf4b819c5991fe208aaa96edf142730f1d)"
	.section	".note.GNU-stack","",@progbits
	.addrsig
	.addrsig_sym __hip_cuid_3d83a8296af283f7
	.amdgpu_metadata
---
amdhsa.kernels:
  - .args:
      - .actual_access:  read_only
        .address_space:  global
        .offset:         0
        .size:           8
        .value_kind:     global_buffer
      - .offset:         8
        .size:           8
        .value_kind:     by_value
      - .actual_access:  read_only
        .address_space:  global
        .offset:         16
        .size:           8
        .value_kind:     global_buffer
      - .actual_access:  read_only
        .address_space:  global
        .offset:         24
        .size:           8
        .value_kind:     global_buffer
      - .offset:         32
        .size:           8
        .value_kind:     by_value
      - .actual_access:  read_only
        .address_space:  global
        .offset:         40
        .size:           8
        .value_kind:     global_buffer
      - .actual_access:  read_only
        .address_space:  global
        .offset:         48
        .size:           8
        .value_kind:     global_buffer
      - .offset:         56
        .size:           4
        .value_kind:     by_value
      - .actual_access:  read_only
        .address_space:  global
        .offset:         64
        .size:           8
        .value_kind:     global_buffer
      - .actual_access:  read_only
        .address_space:  global
        .offset:         72
        .size:           8
        .value_kind:     global_buffer
      - .address_space:  global
        .offset:         80
        .size:           8
        .value_kind:     global_buffer
    .group_segment_fixed_size: 0
    .kernarg_segment_align: 8
    .kernarg_segment_size: 88
    .language:       OpenCL C
    .language_version:
      - 2
      - 0
    .max_flat_workgroup_size: 195
    .name:           fft_rtc_fwd_len585_factors_13_5_9_wgs_195_tpt_65_half_ip_CI_sbrr_dirReg
    .private_segment_fixed_size: 0
    .sgpr_count:     37
    .sgpr_spill_count: 0
    .symbol:         fft_rtc_fwd_len585_factors_13_5_9_wgs_195_tpt_65_half_ip_CI_sbrr_dirReg.kd
    .uniform_work_group_size: 1
    .uses_dynamic_stack: false
    .vgpr_count:     83
    .vgpr_spill_count: 0
    .wavefront_size: 32
    .workgroup_processor_mode: 1
amdhsa.target:   amdgcn-amd-amdhsa--gfx1201
amdhsa.version:
  - 1
  - 2
...

	.end_amdgpu_metadata
